;; amdgpu-corpus repo=ROCm/bitsandbytes kind=harvested arch=n/a opt=n/a
	.text
	.amdgcn_target "amdgcn-amd-amdhsa--gfx90a"
	.amdhsa_code_object_version 6
	.protected	_Z11kDequantizePfPhS_i  ; -- Begin function _Z11kDequantizePfPhS_i
	.globl	_Z11kDequantizePfPhS_i
	.p2align	8
	.type	_Z11kDequantizePfPhS_i,@function
_Z11kDequantizePfPhS_i:                 ; @_Z11kDequantizePfPhS_i
; %bb.0:
	s_load_dwordx4 s[0:3], s[4:5], 0x0
	s_load_dwordx2 s[8:9], s[4:5], 0x10
	s_load_dword s12, s[4:5], 0x2c
	s_movk_i32 s7, 0x100
	v_cmp_gt_u32_e32 vcc, s7, v0
	s_and_saveexec_b64 s[10:11], vcc
	s_cbranch_execz .LBB1_2
; %bb.1:
	v_lshlrev_b32_e32 v1, 2, v0
	s_waitcnt lgkmcnt(0)
	global_load_dword v2, v1, s[0:1]
	s_waitcnt vmcnt(0)
	ds_write_b32 v1, v2
.LBB1_2:
	s_or_b64 exec, exec, s[10:11]
	s_load_dword s7, s[4:5], 0x18
	s_waitcnt lgkmcnt(0)
	s_and_b32 s10, 0xffff, s12
	s_mul_i32 s6, s6, s10
	v_add_u32_e32 v0, s6, v0
	v_cmp_gt_i32_e32 vcc, s7, v0
	s_barrier
	s_and_saveexec_b64 s[0:1], vcc
	s_cbranch_execz .LBB1_5
; %bb.3:
	s_load_dword s4, s[4:5], 0x20
	s_mov_b64 s[0:1], 0
	v_mov_b32_e32 v2, s3
	v_mov_b32_e32 v3, s9
	s_waitcnt lgkmcnt(0)
	s_mul_i32 s3, s4, s10
.LBB1_4:                                ; =>This Inner Loop Header: Depth=1
	v_ashrrev_i32_e32 v1, 31, v0
	v_add_co_u32_e32 v4, vcc, s2, v0
	v_addc_co_u32_e32 v5, vcc, v2, v1, vcc
	global_load_ubyte v6, v[4:5], off
	v_lshlrev_b64 v[4:5], 2, v[0:1]
	v_add_co_u32_e32 v4, vcc, s8, v4
	v_addc_co_u32_e32 v5, vcc, v3, v5, vcc
	v_add_u32_e32 v0, s3, v0
	v_cmp_le_i32_e32 vcc, s7, v0
	s_or_b64 s[0:1], vcc, s[0:1]
	s_waitcnt vmcnt(0)
	v_lshlrev_b32_e32 v1, 2, v6
	ds_read_b32 v1, v1
	s_waitcnt lgkmcnt(0)
	global_store_dword v[4:5], v1, off
	s_andn2_b64 exec, exec, s[0:1]
	s_cbranch_execnz .LBB1_4
.LBB1_5:
	s_endpgm
	.section	.rodata,"a",@progbits
	.p2align	6, 0x0
	.amdhsa_kernel _Z11kDequantizePfPhS_i
		.amdhsa_group_segment_fixed_size 1024
		.amdhsa_private_segment_fixed_size 0
		.amdhsa_kernarg_size 288
		.amdhsa_user_sgpr_count 6
		.amdhsa_user_sgpr_private_segment_buffer 1
		.amdhsa_user_sgpr_dispatch_ptr 0
		.amdhsa_user_sgpr_queue_ptr 0
		.amdhsa_user_sgpr_kernarg_segment_ptr 1
		.amdhsa_user_sgpr_dispatch_id 0
		.amdhsa_user_sgpr_flat_scratch_init 0
		.amdhsa_user_sgpr_kernarg_preload_length 0
		.amdhsa_user_sgpr_kernarg_preload_offset 0
		.amdhsa_user_sgpr_private_segment_size 0
		.amdhsa_uses_dynamic_stack 0
		.amdhsa_system_sgpr_private_segment_wavefront_offset 0
		.amdhsa_system_sgpr_workgroup_id_x 1
		.amdhsa_system_sgpr_workgroup_id_y 0
		.amdhsa_system_sgpr_workgroup_id_z 0
		.amdhsa_system_sgpr_workgroup_info 0
		.amdhsa_system_vgpr_workitem_id 0
		.amdhsa_next_free_vgpr 7
		.amdhsa_next_free_sgpr 13
		.amdhsa_accum_offset 8
		.amdhsa_reserve_vcc 1
		.amdhsa_reserve_flat_scratch 0
		.amdhsa_float_round_mode_32 0
		.amdhsa_float_round_mode_16_64 0
		.amdhsa_float_denorm_mode_32 3
		.amdhsa_float_denorm_mode_16_64 3
		.amdhsa_dx10_clamp 1
		.amdhsa_ieee_mode 1
		.amdhsa_fp16_overflow 0
		.amdhsa_tg_split 0
		.amdhsa_exception_fp_ieee_invalid_op 0
		.amdhsa_exception_fp_denorm_src 0
		.amdhsa_exception_fp_ieee_div_zero 0
		.amdhsa_exception_fp_ieee_overflow 0
		.amdhsa_exception_fp_ieee_underflow 0
		.amdhsa_exception_fp_ieee_inexact 0
		.amdhsa_exception_int_div_zero 0
	.end_amdhsa_kernel
	.text
.Lfunc_end1:
	.size	_Z11kDequantizePfPhS_i, .Lfunc_end1-_Z11kDequantizePfPhS_i
                                        ; -- End function
	.section	.AMDGPU.csdata,"",@progbits
; Kernel info:
; codeLenInByte = 232
; NumSgprs: 17
; NumVgprs: 7
; NumAgprs: 0
; TotalNumVgprs: 7
; ScratchSize: 0
; MemoryBound: 0
; FloatMode: 240
; IeeeMode: 1
; LDSByteSize: 1024 bytes/workgroup (compile time only)
; SGPRBlocks: 2
; VGPRBlocks: 0
; NumSGPRsForWavesPerEU: 17
; NumVGPRsForWavesPerEU: 7
; AccumOffset: 8
; Occupancy: 8
; WaveLimiterHint : 0
; COMPUTE_PGM_RSRC2:SCRATCH_EN: 0
; COMPUTE_PGM_RSRC2:USER_SGPR: 6
; COMPUTE_PGM_RSRC2:TRAP_HANDLER: 0
; COMPUTE_PGM_RSRC2:TGID_X_EN: 1
; COMPUTE_PGM_RSRC2:TGID_Y_EN: 0
; COMPUTE_PGM_RSRC2:TGID_Z_EN: 0
; COMPUTE_PGM_RSRC2:TIDIG_COMP_CNT: 0
; COMPUTE_PGM_RSRC3_GFX90A:ACCUM_OFFSET: 1
; COMPUTE_PGM_RSRC3_GFX90A:TG_SPLIT: 0
	.section	.text._Z12kgetRowStatsI6__halfLi1024ELi0EEvPT_Pffii,"axG",@progbits,_Z12kgetRowStatsI6__halfLi1024ELi0EEvPT_Pffii,comdat
